;; amdgpu-corpus repo=zjin-lcf/HeCBench kind=compiled arch=gfx1250 opt=O3
	.amdgcn_target "amdgcn-amd-amdhsa--gfx1250"
	.amdhsa_code_object_version 6
	.text
	.protected	_Z17CompressionKerneliPKyPcPKiPi ; -- Begin function _Z17CompressionKerneliPKyPcPKiPi
	.globl	_Z17CompressionKerneliPKyPcPKiPi
	.p2align	8
	.type	_Z17CompressionKerneliPKyPcPKiPi,@function
_Z17CompressionKerneliPKyPcPKiPi:       ; @_Z17CompressionKerneliPKyPcPKiPi
; %bb.0:
	s_clause 0x1
	s_load_b32 s4, s[0:1], 0x34
	s_load_b32 s6, s[0:1], 0x0
	s_bfe_u32 s5, ttmp6, 0x4000c
	s_and_b32 s7, ttmp6, 15
	s_add_co_i32 s5, s5, 1
	s_getreg_b32 s8, hwreg(HW_REG_IB_STS2, 6, 4)
	s_mul_i32 s5, ttmp9, s5
	s_load_b64 s[2:3], s[0:1], 0x18
	s_add_co_i32 s7, s7, s5
	v_dual_lshrrev_b32 v1, 5, v0 :: v_dual_bitop2_b32 v2, 31, v0 bitop3:0x40
	v_mov_b32_e32 v3, 0
	s_delay_alu instid0(VALU_DEP_2) | instskip(NEXT) | instid1(VALU_DEP_1)
	v_mul_u32_u24_e32 v1, 48, v1
	v_lshlrev_b32_e32 v13, 2, v1
	s_wait_kmcnt 0x0
	s_and_b32 s4, s4, 0xffff
	s_cmp_eq_u32 s8, 0
	s_mov_b32 s8, exec_lo
	s_cselect_b32 s5, ttmp9, s7
	s_abs_i32 s7, s6
	v_mad_u32 v4, s5, s4, v0
	s_cvt_f32_u32 s4, s7
	v_lshl_add_u32 v14, v2, 2, v13
	s_mov_b32 s5, 0
	v_mov_b32_e32 v1, 0
	v_rcp_iflag_f32_e32 v5, s4
	ds_store_b32 v14, v3
	v_lshrrev_b32_e32 v12, 5, v4
	v_readfirstlane_b32 s4, v5
	v_cmpx_lt_u32_e32 31, v4
	s_cbranch_execz .LBB0_2
; %bb.1:
	global_load_b32 v1, v12, s[2:3] offset:-4 scale_offset
.LBB0_2:
	s_wait_xcnt 0x0
	s_or_b32 exec_lo, exec_lo, s8
	global_load_b32 v15, v12, s[2:3] scale_offset
	s_wait_loadcnt 0x1
	v_add_nc_u32_e32 v4, 1, v1
	s_wait_xcnt 0x0
	s_load_b64 s[2:3], s[0:1], 0x20
	s_mov_b32 s8, exec_lo
	s_delay_alu instid0(VALU_DEP_1) | instskip(NEXT) | instid1(VALU_DEP_1)
	v_lshrrev_b32_e32 v5, 31, v4
	v_add_nc_u32_e32 v4, v4, v5
	s_delay_alu instid0(VALU_DEP_1) | instskip(NEXT) | instid1(VALU_DEP_1)
	v_dual_ashrrev_i32 v5, 1, v4 :: v_dual_add_nc_u32 v4, v1, v2
	v_lshl_add_u32 v16, v5, 4, v5
	s_wait_loadcnt 0x0
	s_delay_alu instid0(VALU_DEP_2)
	v_cmpx_lt_i32_e64 v4, v15
	s_cbranch_execz .LBB0_11
; %bb.3:
	s_mul_f32 s4, s4, 0x4f7ffffe
	s_sub_co_i32 s9, 0, s7
                                        ; implicit-def: $vgpr18
	v_add_nc_u32_e32 v5, s6, v2
	v_add_nc_u32_e32 v17, 60, v14
	s_cvt_u32_f32 s4, s4
	s_delay_alu instid0(SALU_CYCLE_3) | instskip(NEXT) | instid1(SALU_CYCLE_1)
	s_mul_i32 s9, s9, s4
	s_mul_hi_u32 s9, s4, s9
	s_delay_alu instid0(SALU_CYCLE_1) | instskip(NEXT) | instid1(SALU_CYCLE_1)
	s_add_co_i32 s4, s4, s9
	v_mul_u64_e32 v[6:7], s[4:5], v[2:3]
	s_delay_alu instid0(VALU_DEP_1) | instskip(SKIP_1) | instid1(VALU_DEP_2)
	v_mul_lo_u32 v1, v7, s7
	v_mov_b64_e32 v[6:7], 0
	v_sub_nc_u32_e32 v1, v2, v1
	s_delay_alu instid0(VALU_DEP_1) | instskip(SKIP_1) | instid1(VALU_DEP_2)
	v_subrev_nc_u32_e32 v3, s7, v1
	v_cmp_le_u32_e32 vcc_lo, s7, v1
	v_cndmask_b32_e32 v1, v1, v3, vcc_lo
	s_delay_alu instid0(VALU_DEP_1)
	v_subrev_nc_u32_e32 v3, s7, v1
	v_cmp_le_u32_e32 vcc_lo, s7, v1
	s_load_b128 s[4:7], s[0:1], 0x8
	s_wait_xcnt 0x0
	s_mov_b32 s1, 0
	v_dual_cndmask_b32 v1, v1, v3, vcc_lo :: v_dual_lshrrev_b32 v3, 1, v2
	s_delay_alu instid0(VALU_DEP_1) | instskip(NEXT) | instid1(VALU_DEP_1)
	v_dual_sub_nc_u32 v1, v1, v5 :: v_dual_bitop2_b32 v5, 1, v0 bitop3:0x40
	v_add_nc_u32_e32 v0, 32, v1
	s_delay_alu instid0(VALU_DEP_2) | instskip(NEXT) | instid1(VALU_DEP_2)
	v_cmp_eq_u32_e32 vcc_lo, 1, v5
	v_ashrrev_i32_e32 v1, 31, v0
	s_branch .LBB0_5
.LBB0_4:                                ;   in Loop: Header=BB0_5 Depth=1
	s_wait_xcnt 0x0
	s_or_b32 exec_lo, exec_lo, s0
	v_lshl_add_u64 v[6:7], v[0:1], 3, v[6:7]
	v_dual_add_nc_u32 v4, 32, v4 :: v_dual_add_nc_u32 v16, v20, v5
	global_load_b64 v[6:7], v[6:7], off
	v_cmp_ge_i32_e64 s0, v4, v15
	s_or_b32 s1, s0, s1
	s_wait_xcnt 0x0
	s_and_not1_b32 exec_lo, exec_lo, s1
	s_cbranch_execz .LBB0_10
.LBB0_5:                                ; =>This Loop Header: Depth=1
                                        ;     Child Loop BB0_7 Depth 2
	s_wait_kmcnt 0x0
	global_load_b64 v[8:9], v4, s[4:5] scale_offset
	s_mov_b32 s9, exec_lo
	v_add_nc_u32_e32 v20, 16, v16
	s_wait_loadcnt 0x0
	v_min_u64 v[10:11], v[8:9], v[6:7]
	v_max_u64 v[6:7], v[8:9], v[6:7]
	s_delay_alu instid0(VALU_DEP_1) | instskip(NEXT) | instid1(VALU_DEP_1)
	v_sub_nc_u64_e32 v[6:7], v[6:7], v[10:11]
	v_clz_i32_u32_e32 v5, v6
	s_delay_alu instid0(VALU_DEP_2) | instskip(NEXT) | instid1(VALU_DEP_2)
	v_clz_i32_u32_e32 v8, v7
	v_add_nc_u32_e64 v5, v5, 32 clamp
	s_delay_alu instid0(VALU_DEP_1) | instskip(NEXT) | instid1(VALU_DEP_1)
	v_min3_u32 v5, v5, v8, 64
	v_lshrrev_b32_e32 v5, 3, v5
	s_delay_alu instid0(VALU_DEP_1) | instskip(SKIP_1) | instid1(VALU_DEP_1)
	v_sub_nc_u32_e32 v8, 8, v5
	v_cmp_ne_u32_e64 s0, 6, v5
	v_cndmask_b32_e64 v19, 3, v8, s0
	ds_store_b32 v14, v19 offset:64
	s_wait_dscnt 0x0
	ds_load_2addr_b32 v[8:9], v14 offset0:15 offset1:16
	s_wait_dscnt 0x0
	v_add_nc_u32_e32 v5, v9, v8
	ds_store_b32 v14, v5 offset:64
	s_wait_dscnt 0x0
	ds_load_2addr_b32 v[8:9], v14 offset0:14 offset1:16
	s_wait_dscnt 0x0
	v_add_nc_u32_e32 v5, v9, v8
	;; [unrolled: 5-line block ×4, first 2 shown]
	ds_store_b32 v14, v5 offset:64
	s_wait_dscnt 0x0
	ds_load_2addr_b32 v[8:9], v14 offset1:16
	s_wait_dscnt 0x0
	v_add_nc_u32_e32 v5, v9, v8
	ds_store_b32 v14, v5 offset:64
	s_wait_dscnt 0x0
	s_wait_xcnt 0x0
	v_cmpx_ne_u32_e32 0, v19
	s_cbranch_execz .LBB0_8
; %bb.6:                                ;   in Loop: Header=BB0_5 Depth=1
	ds_load_b32 v5, v17
	s_mov_b32 s10, 0
	s_wait_dscnt 0x0
	v_add_nc_u32_e32 v8, v20, v5
	s_delay_alu instid0(VALU_DEP_1) | instskip(NEXT) | instid1(VALU_DEP_1)
	v_dual_ashrrev_i32 v9, 31, v8 :: v_dual_add_nc_u32 v5, v8, v19
	v_add_nc_u64_e32 v[10:11], s[6:7], v[8:9]
.LBB0_7:                                ;   Parent Loop BB0_5 Depth=1
                                        ; =>  This Inner Loop Header: Depth=2
	v_add_nc_u32_e32 v8, 1, v8
	global_store_b8 v[10:11], v6, off
	s_wait_xcnt 0x0
	v_lshrrev_b64 v[6:7], 8, v[6:7]
	v_add_nc_u64_e32 v[10:11], 1, v[10:11]
	v_cmp_ge_i32_e64 s0, v8, v5
	s_or_b32 s10, s0, s10
	s_delay_alu instid0(SALU_CYCLE_1)
	s_and_not1_b32 exec_lo, exec_lo, s10
	s_cbranch_execnz .LBB0_7
.LBB0_8:                                ;   in Loop: Header=BB0_5 Depth=1
	s_or_b32 exec_lo, exec_lo, s9
	v_cmp_lt_u32_e64 s0, 2, v19
	s_delay_alu instid0(VALU_DEP_1) | instskip(NEXT) | instid1(VALU_DEP_1)
	v_subrev_co_ci_u32_e64 v8, null, 0, v19, s0
	v_dual_ashrrev_i32 v5, 31, v4 :: v_dual_bitop2_b32 v18, v8, v18 bitop3:0x54
	s_delay_alu instid0(VALU_DEP_1)
	v_lshl_add_u64 v[6:7], v[4:5], 3, s[4:5]
	ds_load_b32 v5, v13 offset:188
	ds_store_b32 v14, v18 offset:64
	s_wait_storecnt_dscnt 0x0
	s_and_saveexec_b32 s0, vcc_lo
	s_cbranch_execz .LBB0_4
; %bb.9:                                ;   in Loop: Header=BB0_5 Depth=1
	ds_load_b32 v8, v14 offset:60
	v_add_nc_u32_e32 v9, v16, v3
	s_wait_dscnt 0x0
	v_lshl_or_b32 v8, v18, 4, v8
	global_store_b8 v9, v8, s[6:7]
	s_branch .LBB0_4
.LBB0_10:
	s_or_b32 exec_lo, exec_lo, s1
.LBB0_11:
	s_delay_alu instid0(SALU_CYCLE_1)
	s_or_b32 exec_lo, exec_lo, s8
	s_wait_xcnt 0x0
	s_mov_b32 s0, exec_lo
	v_cmpx_eq_u32_e32 31, v2
	s_cbranch_execz .LBB0_13
; %bb.12:
	s_wait_kmcnt 0x0
	global_store_b32 v12, v16, s[2:3] scale_offset
.LBB0_13:
	s_endpgm
	.section	.rodata,"a",@progbits
	.p2align	6, 0x0
	.amdhsa_kernel _Z17CompressionKerneliPKyPcPKiPi
		.amdhsa_group_segment_fixed_size 6144
		.amdhsa_private_segment_fixed_size 0
		.amdhsa_kernarg_size 296
		.amdhsa_user_sgpr_count 2
		.amdhsa_user_sgpr_dispatch_ptr 0
		.amdhsa_user_sgpr_queue_ptr 0
		.amdhsa_user_sgpr_kernarg_segment_ptr 1
		.amdhsa_user_sgpr_dispatch_id 0
		.amdhsa_user_sgpr_kernarg_preload_length 0
		.amdhsa_user_sgpr_kernarg_preload_offset 0
		.amdhsa_user_sgpr_private_segment_size 0
		.amdhsa_wavefront_size32 1
		.amdhsa_uses_dynamic_stack 0
		.amdhsa_enable_private_segment 0
		.amdhsa_system_sgpr_workgroup_id_x 1
		.amdhsa_system_sgpr_workgroup_id_y 0
		.amdhsa_system_sgpr_workgroup_id_z 0
		.amdhsa_system_sgpr_workgroup_info 0
		.amdhsa_system_vgpr_workitem_id 0
		.amdhsa_next_free_vgpr 21
		.amdhsa_next_free_sgpr 11
		.amdhsa_named_barrier_count 0
		.amdhsa_reserve_vcc 1
		.amdhsa_float_round_mode_32 0
		.amdhsa_float_round_mode_16_64 0
		.amdhsa_float_denorm_mode_32 3
		.amdhsa_float_denorm_mode_16_64 3
		.amdhsa_fp16_overflow 0
		.amdhsa_memory_ordered 1
		.amdhsa_forward_progress 1
		.amdhsa_inst_pref_size 9
		.amdhsa_round_robin_scheduling 0
		.amdhsa_exception_fp_ieee_invalid_op 0
		.amdhsa_exception_fp_denorm_src 0
		.amdhsa_exception_fp_ieee_div_zero 0
		.amdhsa_exception_fp_ieee_overflow 0
		.amdhsa_exception_fp_ieee_underflow 0
		.amdhsa_exception_fp_ieee_inexact 0
		.amdhsa_exception_int_div_zero 0
	.end_amdhsa_kernel
	.text
.Lfunc_end0:
	.size	_Z17CompressionKerneliPKyPcPKiPi, .Lfunc_end0-_Z17CompressionKerneliPKyPcPKiPi
                                        ; -- End function
	.set _Z17CompressionKerneliPKyPcPKiPi.num_vgpr, 21
	.set _Z17CompressionKerneliPKyPcPKiPi.num_agpr, 0
	.set _Z17CompressionKerneliPKyPcPKiPi.numbered_sgpr, 11
	.set _Z17CompressionKerneliPKyPcPKiPi.num_named_barrier, 0
	.set _Z17CompressionKerneliPKyPcPKiPi.private_seg_size, 0
	.set _Z17CompressionKerneliPKyPcPKiPi.uses_vcc, 1
	.set _Z17CompressionKerneliPKyPcPKiPi.uses_flat_scratch, 0
	.set _Z17CompressionKerneliPKyPcPKiPi.has_dyn_sized_stack, 0
	.set _Z17CompressionKerneliPKyPcPKiPi.has_recursion, 0
	.set _Z17CompressionKerneliPKyPcPKiPi.has_indirect_call, 0
	.section	.AMDGPU.csdata,"",@progbits
; Kernel info:
; codeLenInByte = 1040
; TotalNumSgprs: 13
; NumVgprs: 21
; ScratchSize: 0
; MemoryBound: 0
; FloatMode: 240
; IeeeMode: 1
; LDSByteSize: 6144 bytes/workgroup (compile time only)
; SGPRBlocks: 0
; VGPRBlocks: 1
; NumSGPRsForWavesPerEU: 13
; NumVGPRsForWavesPerEU: 21
; NamedBarCnt: 0
; Occupancy: 16
; WaveLimiterHint : 0
; COMPUTE_PGM_RSRC2:SCRATCH_EN: 0
; COMPUTE_PGM_RSRC2:USER_SGPR: 2
; COMPUTE_PGM_RSRC2:TRAP_HANDLER: 0
; COMPUTE_PGM_RSRC2:TGID_X_EN: 1
; COMPUTE_PGM_RSRC2:TGID_Y_EN: 0
; COMPUTE_PGM_RSRC2:TGID_Z_EN: 0
; COMPUTE_PGM_RSRC2:TIDIG_COMP_CNT: 0
	.text
	.p2alignl 7, 3214868480
	.fill 96, 4, 3214868480
	.section	.AMDGPU.gpr_maximums,"",@progbits
	.set amdgpu.max_num_vgpr, 0
	.set amdgpu.max_num_agpr, 0
	.set amdgpu.max_num_sgpr, 0
	.text
	.type	__hip_cuid_ee0209139c49739d,@object ; @__hip_cuid_ee0209139c49739d
	.section	.bss,"aw",@nobits
	.globl	__hip_cuid_ee0209139c49739d
__hip_cuid_ee0209139c49739d:
	.byte	0                               ; 0x0
	.size	__hip_cuid_ee0209139c49739d, 1

	.ident	"AMD clang version 22.0.0git (https://github.com/RadeonOpenCompute/llvm-project roc-7.2.4 26084 f58b06dce1f9c15707c5f808fd002e18c2accf7e)"
	.section	".note.GNU-stack","",@progbits
	.addrsig
	.addrsig_sym __hip_cuid_ee0209139c49739d
	.amdgpu_metadata
---
amdhsa.kernels:
  - .args:
      - .offset:         0
        .size:           4
        .value_kind:     by_value
      - .actual_access:  read_only
        .address_space:  global
        .offset:         8
        .size:           8
        .value_kind:     global_buffer
      - .actual_access:  write_only
        .address_space:  global
        .offset:         16
        .size:           8
        .value_kind:     global_buffer
      - .actual_access:  read_only
        .address_space:  global
        .offset:         24
        .size:           8
        .value_kind:     global_buffer
      - .actual_access:  write_only
        .address_space:  global
        .offset:         32
        .size:           8
        .value_kind:     global_buffer
      - .offset:         40
        .size:           4
        .value_kind:     hidden_block_count_x
      - .offset:         44
        .size:           4
        .value_kind:     hidden_block_count_y
      - .offset:         48
        .size:           4
        .value_kind:     hidden_block_count_z
      - .offset:         52
        .size:           2
        .value_kind:     hidden_group_size_x
      - .offset:         54
        .size:           2
        .value_kind:     hidden_group_size_y
      - .offset:         56
        .size:           2
        .value_kind:     hidden_group_size_z
      - .offset:         58
        .size:           2
        .value_kind:     hidden_remainder_x
      - .offset:         60
        .size:           2
        .value_kind:     hidden_remainder_y
      - .offset:         62
        .size:           2
        .value_kind:     hidden_remainder_z
      - .offset:         80
        .size:           8
        .value_kind:     hidden_global_offset_x
      - .offset:         88
        .size:           8
        .value_kind:     hidden_global_offset_y
      - .offset:         96
        .size:           8
        .value_kind:     hidden_global_offset_z
      - .offset:         104
        .size:           2
        .value_kind:     hidden_grid_dims
    .group_segment_fixed_size: 6144
    .kernarg_segment_align: 8
    .kernarg_segment_size: 296
    .language:       OpenCL C
    .language_version:
      - 2
      - 0
    .max_flat_workgroup_size: 1024
    .name:           _Z17CompressionKerneliPKyPcPKiPi
    .private_segment_fixed_size: 0
    .sgpr_count:     13
    .sgpr_spill_count: 0
    .symbol:         _Z17CompressionKerneliPKyPcPKiPi.kd
    .uniform_work_group_size: 1
    .uses_dynamic_stack: false
    .vgpr_count:     21
    .vgpr_spill_count: 0
    .wavefront_size: 32
amdhsa.target:   amdgcn-amd-amdhsa--gfx1250
amdhsa.version:
  - 1
  - 2
...

	.end_amdgpu_metadata
